;; amdgpu-corpus repo=ROCm/rocFFT kind=compiled arch=gfx1201 opt=O3
	.text
	.amdgcn_target "amdgcn-amd-amdhsa--gfx1201"
	.amdhsa_code_object_version 6
	.protected	fft_rtc_back_len56_factors_7_8_wgs_128_tpt_8_sp_op_CI_CI_sbcr ; -- Begin function fft_rtc_back_len56_factors_7_8_wgs_128_tpt_8_sp_op_CI_CI_sbcr
	.globl	fft_rtc_back_len56_factors_7_8_wgs_128_tpt_8_sp_op_CI_CI_sbcr
	.p2align	8
	.type	fft_rtc_back_len56_factors_7_8_wgs_128_tpt_8_sp_op_CI_CI_sbcr,@function
fft_rtc_back_len56_factors_7_8_wgs_128_tpt_8_sp_op_CI_CI_sbcr: ; @fft_rtc_back_len56_factors_7_8_wgs_128_tpt_8_sp_op_CI_CI_sbcr
; %bb.0:
	s_clause 0x1
	s_load_b128 s[16:19], s[0:1], 0x10
	s_load_b64 s[24:25], s[0:1], 0x20
	s_mov_b32 s30, ttmp9
	s_mov_b32 s31, 0
	s_mov_b64 s[22:23], 0
	s_wait_kmcnt 0x0
	s_load_b64 s[26:27], s[16:17], 0x8
	s_wait_kmcnt 0x0
	s_add_nc_u64 s[2:3], s[26:27], -1
	s_delay_alu instid0(SALU_CYCLE_1) | instskip(NEXT) | instid1(SALU_CYCLE_1)
	s_lshr_b64 s[2:3], s[2:3], 4
	s_add_nc_u64 s[2:3], s[2:3], 1
	s_delay_alu instid0(SALU_CYCLE_1) | instskip(NEXT) | instid1(VALU_DEP_1)
	v_cmp_lt_u64_e64 s4, s[30:31], s[2:3]
	s_and_b32 vcc_lo, exec_lo, s4
	s_cbranch_vccnz .LBB0_2
; %bb.1:
	v_cvt_f32_u32_e32 v1, s2
	s_sub_co_i32 s5, 0, s2
	s_mov_b32 s23, s31
	s_delay_alu instid0(VALU_DEP_1) | instskip(NEXT) | instid1(TRANS32_DEP_1)
	v_rcp_iflag_f32_e32 v1, v1
	v_mul_f32_e32 v1, 0x4f7ffffe, v1
	s_delay_alu instid0(VALU_DEP_1) | instskip(NEXT) | instid1(VALU_DEP_1)
	v_cvt_u32_f32_e32 v1, v1
	v_readfirstlane_b32 s4, v1
	s_delay_alu instid0(VALU_DEP_1) | instskip(NEXT) | instid1(SALU_CYCLE_1)
	s_mul_i32 s5, s5, s4
	s_mul_hi_u32 s5, s4, s5
	s_delay_alu instid0(SALU_CYCLE_1) | instskip(NEXT) | instid1(SALU_CYCLE_1)
	s_add_co_i32 s4, s4, s5
	s_mul_hi_u32 s4, s30, s4
	s_delay_alu instid0(SALU_CYCLE_1) | instskip(SKIP_2) | instid1(SALU_CYCLE_1)
	s_mul_i32 s5, s4, s2
	s_add_co_i32 s6, s4, 1
	s_sub_co_i32 s5, s30, s5
	s_sub_co_i32 s7, s5, s2
	s_cmp_ge_u32 s5, s2
	s_cselect_b32 s4, s6, s4
	s_cselect_b32 s5, s7, s5
	s_add_co_i32 s6, s4, 1
	s_cmp_ge_u32 s5, s2
	s_cselect_b32 s22, s6, s4
.LBB0_2:
	s_load_b128 s[8:11], s[0:1], 0x0
	s_load_b128 s[12:15], s[18:19], 0x0
	;; [unrolled: 1-line block ×3, first 2 shown]
	s_mul_u64 s[20:21], s[22:23], s[2:3]
	s_delay_alu instid0(SALU_CYCLE_1) | instskip(NEXT) | instid1(SALU_CYCLE_1)
	s_sub_nc_u64 s[20:21], s[30:31], s[20:21]
	s_lshl_b64 s[34:35], s[20:21], 4
	s_wait_kmcnt 0x0
	v_cmp_lt_u64_e64 s33, s[10:11], 3
	s_mul_u64 s[28:29], s[14:15], s[34:35]
	s_mul_u64 s[20:21], s[6:7], s[34:35]
	s_delay_alu instid0(VALU_DEP_1)
	s_and_b32 vcc_lo, exec_lo, s33
	s_cbranch_vccnz .LBB0_12
; %bb.3:
	s_add_nc_u64 s[36:37], s[24:25], 16
	s_add_nc_u64 s[38:39], s[18:19], 16
	;; [unrolled: 1-line block ×3, first 2 shown]
	s_mov_b64 s[40:41], 2
	s_mov_b32 s42, 0
.LBB0_4:                                ; =>This Inner Loop Header: Depth=1
	s_load_b64 s[44:45], s[16:17], 0x0
                                        ; implicit-def: $sgpr48_sgpr49
	s_wait_kmcnt 0x0
	s_or_b64 s[46:47], s[22:23], s[44:45]
	s_delay_alu instid0(SALU_CYCLE_1)
	s_mov_b32 s43, s47
	s_mov_b32 s47, -1
	s_cmp_lg_u64 s[42:43], 0
	s_cbranch_scc0 .LBB0_6
; %bb.5:                                ;   in Loop: Header=BB0_4 Depth=1
	s_cvt_f32_u32 s33, s44
	s_cvt_f32_u32 s43, s45
	s_sub_nc_u64 s[50:51], 0, s[44:45]
	s_mov_b32 s47, 0
	s_mov_b32 s55, s42
	s_wait_alu 0xfffe
	s_fmamk_f32 s33, s43, 0x4f800000, s33
	s_wait_alu 0xfffe
	s_delay_alu instid0(SALU_CYCLE_2) | instskip(NEXT) | instid1(TRANS32_DEP_1)
	v_s_rcp_f32 s33, s33
	s_mul_f32 s33, s33, 0x5f7ffffc
	s_wait_alu 0xfffe
	s_delay_alu instid0(SALU_CYCLE_2) | instskip(NEXT) | instid1(SALU_CYCLE_3)
	s_mul_f32 s43, s33, 0x2f800000
	s_trunc_f32 s43, s43
	s_delay_alu instid0(SALU_CYCLE_3) | instskip(SKIP_2) | instid1(SALU_CYCLE_1)
	s_fmamk_f32 s33, s43, 0xcf800000, s33
	s_cvt_u32_f32 s49, s43
	s_wait_alu 0xfffe
	s_cvt_u32_f32 s48, s33
	s_wait_alu 0xfffe
	s_delay_alu instid0(SALU_CYCLE_2)
	s_mul_u64 s[52:53], s[50:51], s[48:49]
	s_wait_alu 0xfffe
	s_mul_hi_u32 s57, s48, s53
	s_mul_i32 s56, s48, s53
	s_mul_hi_u32 s46, s48, s52
	s_mul_i32 s43, s49, s52
	s_add_nc_u64 s[56:57], s[46:47], s[56:57]
	s_mul_hi_u32 s33, s49, s52
	s_mul_hi_u32 s58, s49, s53
	s_add_co_u32 s43, s56, s43
	s_wait_alu 0xfffe
	s_add_co_ci_u32 s54, s57, s33
	s_mul_i32 s52, s49, s53
	s_add_co_ci_u32 s53, s58, 0
	s_wait_alu 0xfffe
	s_add_nc_u64 s[52:53], s[54:55], s[52:53]
	s_wait_alu 0xfffe
	v_add_co_u32 v1, s33, s48, s52
	s_delay_alu instid0(VALU_DEP_1) | instskip(SKIP_1) | instid1(VALU_DEP_1)
	s_cmp_lg_u32 s33, 0
	s_add_co_ci_u32 s49, s49, s53
	v_readfirstlane_b32 s48, v1
	s_mov_b32 s53, s42
	s_wait_alu 0xfffe
	s_delay_alu instid0(VALU_DEP_1)
	s_mul_u64 s[50:51], s[50:51], s[48:49]
	s_wait_alu 0xfffe
	s_mul_hi_u32 s55, s48, s51
	s_mul_i32 s54, s48, s51
	s_mul_hi_u32 s46, s48, s50
	s_mul_i32 s43, s49, s50
	s_add_nc_u64 s[54:55], s[46:47], s[54:55]
	s_mul_hi_u32 s33, s49, s50
	s_mul_hi_u32 s48, s49, s51
	s_add_co_u32 s43, s54, s43
	s_wait_alu 0xfffe
	s_add_co_ci_u32 s52, s55, s33
	s_mul_i32 s50, s49, s51
	s_add_co_ci_u32 s51, s48, 0
	s_wait_alu 0xfffe
	s_add_nc_u64 s[50:51], s[52:53], s[50:51]
	s_wait_alu 0xfffe
	v_add_co_u32 v1, s33, v1, s50
	s_delay_alu instid0(VALU_DEP_1) | instskip(SKIP_1) | instid1(VALU_DEP_1)
	s_cmp_lg_u32 s33, 0
	s_add_co_ci_u32 s33, s49, s51
	v_readfirstlane_b32 s43, v1
	s_wait_alu 0xfffe
	s_mul_hi_u32 s49, s22, s33
	s_mul_i32 s48, s22, s33
	s_mul_hi_u32 s51, s23, s33
	s_mul_i32 s50, s23, s33
	;; [unrolled: 2-line block ×3, first 2 shown]
	s_wait_alu 0xfffe
	s_add_nc_u64 s[48:49], s[46:47], s[48:49]
	s_mul_hi_u32 s43, s23, s43
	s_wait_alu 0xfffe
	s_add_co_u32 s33, s48, s33
	s_add_co_ci_u32 s52, s49, s43
	s_add_co_ci_u32 s51, s51, 0
	s_wait_alu 0xfffe
	s_add_nc_u64 s[48:49], s[52:53], s[50:51]
	s_wait_alu 0xfffe
	s_mul_u64 s[50:51], s[44:45], s[48:49]
	s_add_nc_u64 s[52:53], s[48:49], 1
	s_wait_alu 0xfffe
	v_sub_co_u32 v1, s33, s22, s50
	s_sub_co_i32 s43, s23, s51
	s_cmp_lg_u32 s33, 0
	s_add_nc_u64 s[54:55], s[48:49], 2
	s_delay_alu instid0(VALU_DEP_1) | instskip(SKIP_2) | instid1(VALU_DEP_1)
	v_sub_co_u32 v2, s46, v1, s44
	s_sub_co_ci_u32 s43, s43, s45
	s_cmp_lg_u32 s46, 0
	v_readfirstlane_b32 s46, v2
	s_sub_co_ci_u32 s43, s43, 0
	s_delay_alu instid0(SALU_CYCLE_1) | instskip(SKIP_1) | instid1(VALU_DEP_1)
	s_cmp_ge_u32 s43, s45
	s_cselect_b32 s50, -1, 0
	s_cmp_ge_u32 s46, s44
	s_cselect_b32 s46, -1, 0
	s_cmp_eq_u32 s43, s45
	s_wait_alu 0xfffe
	s_cselect_b32 s43, s46, s50
	s_delay_alu instid0(SALU_CYCLE_1)
	s_cmp_lg_u32 s43, 0
	s_cselect_b32 s43, s54, s52
	s_cselect_b32 s46, s55, s53
	s_cmp_lg_u32 s33, 0
	v_readfirstlane_b32 s33, v1
	s_sub_co_ci_u32 s50, s23, s51
	s_wait_alu 0xfffe
	s_cmp_ge_u32 s50, s45
	s_cselect_b32 s51, -1, 0
	s_cmp_ge_u32 s33, s44
	s_cselect_b32 s33, -1, 0
	s_cmp_eq_u32 s50, s45
	s_wait_alu 0xfffe
	s_cselect_b32 s33, s33, s51
	s_wait_alu 0xfffe
	s_cmp_lg_u32 s33, 0
	s_cselect_b32 s49, s46, s49
	s_cselect_b32 s48, s43, s48
.LBB0_6:                                ;   in Loop: Header=BB0_4 Depth=1
	s_and_not1_b32 vcc_lo, exec_lo, s47
	s_cbranch_vccnz .LBB0_8
; %bb.7:                                ;   in Loop: Header=BB0_4 Depth=1
	v_cvt_f32_u32_e32 v1, s44
	s_sub_co_i32 s43, 0, s44
	s_mov_b32 s49, s42
	s_delay_alu instid0(VALU_DEP_1) | instskip(NEXT) | instid1(TRANS32_DEP_1)
	v_rcp_iflag_f32_e32 v1, v1
	v_mul_f32_e32 v1, 0x4f7ffffe, v1
	s_delay_alu instid0(VALU_DEP_1) | instskip(NEXT) | instid1(VALU_DEP_1)
	v_cvt_u32_f32_e32 v1, v1
	v_readfirstlane_b32 s33, v1
	s_delay_alu instid0(VALU_DEP_1) | instskip(NEXT) | instid1(SALU_CYCLE_1)
	s_mul_i32 s43, s43, s33
	s_mul_hi_u32 s43, s33, s43
	s_delay_alu instid0(SALU_CYCLE_1)
	s_add_co_i32 s33, s33, s43
	s_wait_alu 0xfffe
	s_mul_hi_u32 s33, s22, s33
	s_wait_alu 0xfffe
	s_mul_i32 s43, s33, s44
	s_add_co_i32 s46, s33, 1
	s_sub_co_i32 s43, s22, s43
	s_delay_alu instid0(SALU_CYCLE_1)
	s_sub_co_i32 s47, s43, s44
	s_cmp_ge_u32 s43, s44
	s_cselect_b32 s33, s46, s33
	s_cselect_b32 s43, s47, s43
	s_wait_alu 0xfffe
	s_add_co_i32 s46, s33, 1
	s_cmp_ge_u32 s43, s44
	s_cselect_b32 s48, s46, s33
.LBB0_8:                                ;   in Loop: Header=BB0_4 Depth=1
	s_load_b64 s[46:47], s[38:39], 0x0
	s_load_b64 s[50:51], s[36:37], 0x0
	s_add_nc_u64 s[40:41], s[40:41], 1
	s_mul_u64 s[2:3], s[44:45], s[2:3]
	s_wait_alu 0xfffe
	v_cmp_ge_u64_e64 s33, s[40:41], s[10:11]
	s_mul_u64 s[44:45], s[48:49], s[44:45]
	s_add_nc_u64 s[36:37], s[36:37], 8
	s_wait_alu 0xfffe
	s_sub_nc_u64 s[22:23], s[22:23], s[44:45]
	s_add_nc_u64 s[38:39], s[38:39], 8
	s_add_nc_u64 s[16:17], s[16:17], 8
	s_and_b32 vcc_lo, exec_lo, s33
	s_wait_kmcnt 0x0
	s_wait_alu 0xfffe
	s_mul_u64 s[44:45], s[46:47], s[22:23]
	s_mul_u64 s[22:23], s[50:51], s[22:23]
	s_wait_alu 0xfffe
	s_add_nc_u64 s[28:29], s[44:45], s[28:29]
	s_add_nc_u64 s[20:21], s[22:23], s[20:21]
	s_cbranch_vccnz .LBB0_10
; %bb.9:                                ;   in Loop: Header=BB0_4 Depth=1
	s_mov_b64 s[22:23], s[48:49]
	s_branch .LBB0_4
.LBB0_10:
	v_cmp_lt_u64_e64 s3, s[30:31], s[2:3]
	s_mov_b64 s[22:23], 0
	s_delay_alu instid0(VALU_DEP_1)
	s_and_b32 vcc_lo, exec_lo, s3
	s_cbranch_vccnz .LBB0_12
; %bb.11:
	v_cvt_f32_u32_e32 v1, s2
	s_sub_co_i32 s16, 0, s2
	s_mov_b32 s23, 0
	s_delay_alu instid0(VALU_DEP_1) | instskip(NEXT) | instid1(TRANS32_DEP_1)
	v_rcp_iflag_f32_e32 v1, v1
	v_mul_f32_e32 v1, 0x4f7ffffe, v1
	s_delay_alu instid0(VALU_DEP_1) | instskip(NEXT) | instid1(VALU_DEP_1)
	v_cvt_u32_f32_e32 v1, v1
	v_readfirstlane_b32 s3, v1
	s_delay_alu instid0(VALU_DEP_1) | instskip(NEXT) | instid1(SALU_CYCLE_1)
	s_mul_i32 s16, s16, s3
	s_mul_hi_u32 s16, s3, s16
	s_delay_alu instid0(SALU_CYCLE_1)
	s_add_co_i32 s3, s3, s16
	s_wait_alu 0xfffe
	s_mul_hi_u32 s3, s30, s3
	s_wait_alu 0xfffe
	s_mul_i32 s16, s3, s2
	s_add_co_i32 s17, s3, 1
	s_sub_co_i32 s16, s30, s16
	s_delay_alu instid0(SALU_CYCLE_1)
	s_sub_co_i32 s22, s16, s2
	s_cmp_ge_u32 s16, s2
	s_cselect_b32 s3, s17, s3
	s_wait_alu 0xfffe
	s_cselect_b32 s16, s22, s16
	s_add_co_i32 s17, s3, 1
	s_cmp_ge_u32 s16, s2
	s_cselect_b32 s22, s17, s3
.LBB0_12:
	s_load_b128 s[0:3], s[0:1], 0x58
	v_and_b32_e32 v1, 15, v0
	v_mov_b32_e32 v3, s35
	s_add_nc_u64 s[16:17], s[34:35], 16
	s_delay_alu instid0(SALU_CYCLE_1) | instskip(NEXT) | instid1(VALU_DEP_3)
	v_cmp_le_u64_e64 s30, s[16:17], s[26:27]
	v_or_b32_e32 v2, s34, v1
	s_delay_alu instid0(VALU_DEP_1)
	v_cmp_gt_u64_e32 vcc_lo, s[26:27], v[2:3]
	v_cmp_gt_u64_e64 s26, s[16:17], s[26:27]
	s_lshl_b64 s[16:17], s[10:11], 3
	s_wait_alu 0xfffe
	s_add_nc_u64 s[10:11], s[24:25], s[16:17]
	s_or_b32 s25, s30, vcc_lo
	s_delay_alu instid0(SALU_CYCLE_1)
	s_and_saveexec_b32 s24, s25
	s_cbranch_execz .LBB0_14
; %bb.13:
	v_lshrrev_b32_e32 v20, 4, v0
	s_add_nc_u64 s[16:17], s[18:19], s[16:17]
	v_mad_co_u64_u32 v[2:3], null, s14, v1, 0
	s_load_b64 s[16:17], s[16:17], 0x0
	s_delay_alu instid0(VALU_DEP_2)
	v_mad_co_u64_u32 v[4:5], null, s12, v20, 0
	v_add_nc_u32_e32 v12, 8, v20
	v_add_nc_u32_e32 v13, 16, v20
	;; [unrolled: 1-line block ×6, first 2 shown]
	v_mad_co_u64_u32 v[8:9], null, s15, v1, v[3:4]
	v_mov_b32_e32 v3, v5
	v_mad_co_u64_u32 v[6:7], null, s12, v12, 0
	s_lshl_b64 s[14:15], s[28:29], 3
	v_mul_u32_u24_e32 v1, 0x1c0, v1
	s_delay_alu instid0(VALU_DEP_3)
	v_mad_co_u64_u32 v[9:10], null, s13, v20, v[3:4]
	v_mov_b32_e32 v3, v8
	v_mad_co_u64_u32 v[10:11], null, s12, v13, 0
	v_mov_b32_e32 v5, v7
	s_wait_kmcnt 0x0
	s_mul_u64 s[16:17], s[16:17], s[22:23]
	v_lshlrev_b64_e32 v[2:3], 3, v[2:3]
	s_wait_alu 0xfffe
	s_lshl_b64 s[16:17], s[16:17], 3
	s_wait_alu 0xfffe
	s_add_nc_u64 s[0:1], s[0:1], s[16:17]
	v_mad_co_u64_u32 v[7:8], null, s13, v12, v[5:6]
	v_mov_b32_e32 v5, v9
	s_add_nc_u64 s[0:1], s[0:1], s[14:15]
	v_mad_co_u64_u32 v[8:9], null, s12, v14, 0
	v_add_co_u32 v21, vcc_lo, s0, v2
	v_add_co_ci_u32_e32 v22, vcc_lo, s1, v3, vcc_lo
	v_lshlrev_b64_e32 v[2:3], 3, v[4:5]
	v_mov_b32_e32 v4, v11
	v_lshlrev_b64_e32 v[6:7], 3, v[6:7]
	s_delay_alu instid0(VALU_DEP_2)
	v_mad_co_u64_u32 v[4:5], null, s13, v13, v[4:5]
	v_mad_co_u64_u32 v[12:13], null, s12, v16, 0
	v_mov_b32_e32 v5, v9
	v_add_co_u32 v2, vcc_lo, v21, v2
	s_wait_alu 0xfffd
	v_add_co_ci_u32_e32 v3, vcc_lo, v22, v3, vcc_lo
	v_mov_b32_e32 v11, v4
	v_mad_co_u64_u32 v[4:5], null, s13, v14, v[5:6]
	v_mov_b32_e32 v5, v13
	v_mad_co_u64_u32 v[14:15], null, s12, v19, 0
	s_delay_alu instid0(VALU_DEP_4) | instskip(NEXT) | instid1(VALU_DEP_3)
	v_lshlrev_b64_e32 v[10:11], 3, v[10:11]
	v_mad_co_u64_u32 v[16:17], null, s13, v16, v[5:6]
	v_mad_co_u64_u32 v[17:18], null, s12, v23, 0
	v_add_co_u32 v5, vcc_lo, v21, v6
	s_wait_alu 0xfffd
	v_add_co_ci_u32_e32 v6, vcc_lo, v22, v7, vcc_lo
	v_mov_b32_e32 v7, v15
	s_delay_alu instid0(VALU_DEP_4) | instskip(SKIP_2) | instid1(VALU_DEP_4)
	v_dual_mov_b32 v9, v4 :: v_dual_mov_b32 v4, v18
	v_mov_b32_e32 v13, v16
	v_add_co_u32 v10, vcc_lo, v21, v10
	v_mad_co_u64_u32 v[15:16], null, s13, v19, v[7:8]
	s_delay_alu instid0(VALU_DEP_4) | instskip(SKIP_4) | instid1(VALU_DEP_4)
	v_lshlrev_b64_e32 v[7:8], 3, v[8:9]
	v_mad_co_u64_u32 v[18:19], null, s13, v23, v[4:5]
	v_lshlrev_b64_e32 v[12:13], 3, v[12:13]
	s_wait_alu 0xfffd
	v_add_co_ci_u32_e32 v11, vcc_lo, v22, v11, vcc_lo
	v_add_co_u32 v7, vcc_lo, v21, v7
	v_lshlrev_b64_e32 v[14:15], 3, v[14:15]
	s_wait_alu 0xfffd
	v_add_co_ci_u32_e32 v8, vcc_lo, v22, v8, vcc_lo
	v_add_co_u32 v12, vcc_lo, v21, v12
	;; [unrolled: 4-line block ×3, first 2 shown]
	s_wait_alu 0xfffd
	v_add_co_ci_u32_e32 v15, vcc_lo, v22, v15, vcc_lo
	v_add_co_u32 v16, vcc_lo, v21, v16
	s_wait_alu 0xfffd
	v_add_co_ci_u32_e32 v17, vcc_lo, v22, v17, vcc_lo
	s_clause 0x6
	global_load_b64 v[2:3], v[2:3], off
	global_load_b64 v[4:5], v[5:6], off
	;; [unrolled: 1-line block ×7, first 2 shown]
	v_lshlrev_b32_e32 v8, 3, v20
	s_delay_alu instid0(VALU_DEP_1)
	v_add3_u32 v1, 0, v1, v8
	s_wait_loadcnt 0x5
	ds_store_2addr_b64 v1, v[2:3], v[4:5] offset1:8
	s_wait_loadcnt 0x3
	ds_store_2addr_b64 v1, v[9:10], v[6:7] offset0:16 offset1:24
	s_wait_loadcnt 0x1
	ds_store_2addr_b64 v1, v[11:12], v[13:14] offset0:32 offset1:40
	s_wait_loadcnt 0x0
	ds_store_b64 v1, v[15:16] offset:384
.LBB0_14:
	s_or_b32 exec_lo, exec_lo, s24
	v_bfe_u32 v1, v0, 3, 4
	v_and_b32_e32 v19, 7, v0
	s_load_b64 s[10:11], s[10:11], 0x0
	global_wb scope:SCOPE_SE
	s_wait_dscnt 0x0
	s_wait_kmcnt 0x0
	s_barrier_signal -1
	v_mul_u32_u24_e32 v1, 56, v1
	v_lshlrev_b32_e32 v13, 3, v19
	s_barrier_wait -1
	global_inv scope:SCOPE_SE
	v_lshlrev_b32_e32 v14, 3, v1
	s_delay_alu instid0(VALU_DEP_1)
	v_add3_u32 v17, 0, v13, v14
	ds_load_2addr_b64 v[1:4], v17 offset0:8 offset1:16
	ds_load_2addr_b64 v[5:8], v17 offset0:40 offset1:48
	;; [unrolled: 1-line block ×3, first 2 shown]
	s_wait_dscnt 0x1
	v_dual_add_f32 v15, v1, v7 :: v_dual_add_f32 v16, v2, v8
	v_add3_u32 v18, 0, v14, v13
	v_dual_sub_f32 v1, v1, v7 :: v_dual_sub_f32 v2, v2, v8
	v_dual_add_f32 v7, v3, v5 :: v_dual_add_f32 v8, v4, v6
	v_sub_f32_e32 v4, v4, v6
	ds_load_b64 v[13:14], v18
	s_wait_dscnt 0x1
	v_dual_sub_f32 v3, v3, v5 :: v_dual_add_f32 v6, v10, v12
	v_dual_add_f32 v5, v9, v11 :: v_dual_sub_f32 v10, v12, v10
	v_dual_sub_f32 v9, v11, v9 :: v_dual_add_f32 v12, v8, v16
	v_add_f32_e32 v11, v7, v15
	v_dual_sub_f32 v20, v7, v15 :: v_dual_sub_f32 v21, v8, v16
	s_delay_alu instid0(VALU_DEP_4)
	v_dual_sub_f32 v15, v15, v5 :: v_dual_sub_f32 v8, v6, v8
	v_sub_f32_e32 v16, v16, v6
	v_dual_add_f32 v22, v9, v3 :: v_dual_add_f32 v23, v10, v4
	v_dual_sub_f32 v24, v9, v3 :: v_dual_sub_f32 v25, v10, v4
	v_dual_sub_f32 v3, v3, v1 :: v_dual_add_f32 v12, v6, v12
	v_add_f32_e32 v11, v5, v11
	v_dual_sub_f32 v7, v5, v7 :: v_dual_sub_f32 v10, v2, v10
	v_dual_sub_f32 v9, v1, v9 :: v_dual_sub_f32 v4, v4, v2
	v_dual_add_f32 v1, v22, v1 :: v_dual_mul_f32 v16, 0x3f4a47b2, v16
	v_dual_add_f32 v2, v23, v2 :: v_dual_mul_f32 v15, 0x3f4a47b2, v15
	s_wait_dscnt 0x0
	v_dual_add_f32 v6, v14, v12 :: v_dual_add_f32 v5, v13, v11
	v_mul_f32_e32 v14, 0xbf5ff5aa, v4
	v_dual_mul_f32 v22, 0x3d64c772, v7 :: v_dual_mul_f32 v23, 0x3d64c772, v8
	v_dual_mul_f32 v24, 0x3f08b237, v24 :: v_dual_mul_f32 v25, 0x3f08b237, v25
	v_dual_fmamk_f32 v7, v7, 0x3d64c772, v15 :: v_dual_fmamk_f32 v8, v8, 0x3d64c772, v16
	v_dual_fmamk_f32 v11, v11, 0xbf955555, v5 :: v_dual_fmamk_f32 v12, v12, 0xbf955555, v6
	v_mul_f32_e32 v13, 0xbf5ff5aa, v3
	v_fma_f32 v22, 0x3f3bfb3b, v20, -v22
	v_fma_f32 v23, 0x3f3bfb3b, v21, -v23
	;; [unrolled: 1-line block ×3, first 2 shown]
	v_add_f32_e32 v26, v8, v12
	v_fma_f32 v16, 0xbf3bfb3b, v21, -v16
	v_dual_fmamk_f32 v20, v9, 0xbeae86e6, v24 :: v_dual_fmamk_f32 v21, v10, 0xbeae86e6, v25
	v_fma_f32 v3, 0xbf5ff5aa, v3, -v24
	v_fma_f32 v4, 0xbf5ff5aa, v4, -v25
	;; [unrolled: 1-line block ×4, first 2 shown]
	v_dual_add_f32 v25, v7, v11 :: v_dual_add_f32 v16, v16, v12
	v_dual_add_f32 v10, v22, v11 :: v_dual_fmac_f32 v21, 0xbee1c552, v2
	v_dual_add_f32 v22, v23, v12 :: v_dual_fmac_f32 v3, 0xbee1c552, v1
	;; [unrolled: 1-line block ×3, first 2 shown]
	v_dual_fmac_f32 v9, 0xbee1c552, v2 :: v_dual_fmac_f32 v24, 0xbee1c552, v1
	s_delay_alu instid0(VALU_DEP_4) | instskip(NEXT) | instid1(VALU_DEP_2)
	v_dual_fmac_f32 v4, 0xbee1c552, v2 :: v_dual_add_f32 v11, v25, v21
	v_dual_sub_f32 v12, v26, v20 :: v_dual_add_f32 v7, v9, v15
	s_delay_alu instid0(VALU_DEP_3) | instskip(NEXT) | instid1(VALU_DEP_3)
	v_dual_sub_f32 v8, v16, v24 :: v_dual_sub_f32 v9, v15, v9
	v_dual_sub_f32 v13, v10, v4 :: v_dual_add_f32 v14, v3, v22
	v_dual_add_f32 v1, v4, v10 :: v_dual_sub_f32 v2, v22, v3
	v_dual_add_f32 v10, v24, v16 :: v_dual_sub_f32 v3, v25, v21
	v_add_f32_e32 v4, v20, v26
	v_mad_u32_u24 v15, v19, 48, v17
	v_cmp_eq_u32_e32 vcc_lo, 7, v19
	v_cmp_ne_u32_e64 s0, 7, v19
	global_wb scope:SCOPE_SE
	s_barrier_signal -1
	s_barrier_wait -1
	global_inv scope:SCOPE_SE
	ds_store_2addr_b64 v15, v[5:6], v[11:12] offset1:1
	ds_store_2addr_b64 v15, v[7:8], v[13:14] offset0:2 offset1:3
	ds_store_2addr_b64 v15, v[1:2], v[9:10] offset0:4 offset1:5
	ds_store_b64 v15, v[3:4] offset:48
	global_wb scope:SCOPE_SE
	s_wait_dscnt 0x0
	s_barrier_signal -1
	s_barrier_wait -1
	global_inv scope:SCOPE_SE
                                        ; implicit-def: $vgpr16
	s_and_saveexec_b32 s1, s0
	s_cbranch_execz .LBB0_16
; %bb.15:
	ds_load_2addr_b64 v[1:4], v17 offset0:35 offset1:42
	ds_load_2addr_b64 v[11:14], v17 offset0:21 offset1:28
	;; [unrolled: 1-line block ×3, first 2 shown]
	ds_load_b64 v[5:6], v18
	ds_load_b64 v[15:16], v17 offset:392
	s_wait_dscnt 0x4
	v_dual_mov_b32 v10, v2 :: v_dual_mov_b32 v9, v1
	s_wait_dscnt 0x3
	v_dual_mov_b32 v2, v14 :: v_dual_mov_b32 v1, v13
	v_dual_mov_b32 v14, v12 :: v_dual_mov_b32 v13, v11
	s_wait_dscnt 0x2
	v_dual_mov_b32 v8, v23 :: v_dual_mov_b32 v7, v22
	v_dual_mov_b32 v12, v21 :: v_dual_mov_b32 v11, v20
.LBB0_16:
	s_wait_alu 0xfffe
	s_or_b32 exec_lo, exec_lo, s1
	global_wb scope:SCOPE_SE
	s_wait_dscnt 0x0
	s_barrier_signal -1
	s_barrier_wait -1
	global_inv scope:SCOPE_SE
	s_and_saveexec_b32 s1, s0
	s_cbranch_execz .LBB0_18
; %bb.17:
	v_mul_u32_u24_e32 v19, 7, v19
	s_wait_alu 0xfffd
	s_delay_alu instid0(VALU_DEP_1) | instskip(NEXT) | instid1(VALU_DEP_1)
	v_cndmask_b32_e64 v19, v19, 0, vcc_lo
	v_lshlrev_b32_e32 v31, 3, v19
	s_clause 0x3
	global_load_b128 v[19:22], v31, s[8:9] offset:16
	global_load_b128 v[23:26], v31, s[8:9]
	global_load_b128 v[27:30], v31, s[8:9] offset:32
	global_load_b64 v[31:32], v31, s[8:9] offset:48
	s_wait_loadcnt 0x2
	v_dual_mul_f32 v33, v1, v22 :: v_dual_mul_f32 v36, v11, v24
	v_mul_f32_e32 v34, v8, v26
	s_wait_loadcnt 0x1
	v_dual_mul_f32 v35, v4, v30 :: v_dual_mul_f32 v38, v14, v20
	v_dual_mul_f32 v37, v9, v28 :: v_dual_mul_f32 v26, v7, v26
	s_wait_loadcnt 0x0
	v_dual_mul_f32 v39, v16, v32 :: v_dual_mul_f32 v30, v3, v30
	s_delay_alu instid0(VALU_DEP_3) | instskip(NEXT) | instid1(VALU_DEP_3)
	v_dual_mul_f32 v20, v13, v20 :: v_dual_fmac_f32 v35, v3, v29
	v_fma_f32 v8, v8, v25, -v26
	s_delay_alu instid0(VALU_DEP_3) | instskip(NEXT) | instid1(VALU_DEP_4)
	v_dual_mul_f32 v24, v12, v24 :: v_dual_fmac_f32 v39, v15, v31
	v_fma_f32 v4, v4, v29, -v30
	v_fmac_f32_e32 v34, v7, v25
	v_fma_f32 v3, v12, v23, -v36
	v_fma_f32 v7, v10, v27, -v37
	v_mul_f32_e32 v28, v10, v28
	v_sub_f32_e32 v4, v8, v4
	v_mul_f32_e32 v22, v2, v22
	v_fma_f32 v2, v2, v21, -v33
	v_mul_f32_e32 v32, v15, v32
	v_sub_f32_e32 v7, v3, v7
	v_fmac_f32_e32 v38, v13, v19
	v_fmac_f32_e32 v22, v1, v21
	;; [unrolled: 1-line block ×3, first 2 shown]
	v_fma_f32 v10, v14, v19, -v20
	s_delay_alu instid0(VALU_DEP_3) | instskip(SKIP_1) | instid1(VALU_DEP_2)
	v_sub_f32_e32 v13, v5, v22
	v_fma_f32 v22, v3, 2.0, -v7
	v_add_f32_e32 v19, v13, v4
	v_dual_fmac_f32 v28, v9, v27 :: v_dual_sub_f32 v9, v6, v2
	v_fma_f32 v12, v16, v31, -v32
	v_fma_f32 v21, v5, 2.0, -v13
	v_fma_f32 v4, v8, 2.0, -v4
	;; [unrolled: 1-line block ×4, first 2 shown]
	v_sub_f32_e32 v11, v10, v12
	v_sub_f32_e32 v1, v34, v35
	s_delay_alu instid0(VALU_DEP_2) | instskip(NEXT) | instid1(VALU_DEP_2)
	v_fma_f32 v3, v10, 2.0, -v11
	v_fma_f32 v5, v34, 2.0, -v1
	v_sub_f32_e32 v12, v24, v28
	s_delay_alu instid0(VALU_DEP_2) | instskip(NEXT) | instid1(VALU_DEP_2)
	v_dual_sub_f32 v10, v20, v4 :: v_dual_sub_f32 v23, v21, v5
	v_fma_f32 v8, v24, 2.0, -v12
	v_sub_f32_e32 v2, v38, v39
	v_sub_f32_e32 v24, v22, v3
	s_delay_alu instid0(VALU_DEP_2) | instskip(NEXT) | instid1(VALU_DEP_2)
	v_dual_sub_f32 v14, v9, v1 :: v_dual_sub_f32 v15, v7, v2
	v_add_f32_e32 v3, v23, v24
	s_delay_alu instid0(VALU_DEP_2) | instskip(SKIP_1) | instid1(VALU_DEP_4)
	v_fma_f32 v25, v9, 2.0, -v14
	v_fma_f32 v6, v38, 2.0, -v2
	;; [unrolled: 1-line block ×3, first 2 shown]
	v_add_f32_e32 v16, v12, v11
	s_delay_alu instid0(VALU_DEP_2) | instskip(NEXT) | instid1(VALU_DEP_2)
	v_dual_sub_f32 v11, v8, v6 :: v_dual_fmamk_f32 v6, v9, 0xbf3504f3, v25
	v_fma_f32 v12, v12, 2.0, -v16
	s_delay_alu instid0(VALU_DEP_2) | instskip(SKIP_2) | instid1(VALU_DEP_4)
	v_sub_f32_e32 v4, v10, v11
	v_fma_f32 v11, v8, 2.0, -v11
	v_fmamk_f32 v2, v15, 0x3f3504f3, v14
	v_dual_fmamk_f32 v5, v12, 0xbf3504f3, v13 :: v_dual_fmac_f32 v6, 0xbf3504f3, v12
	s_delay_alu instid0(VALU_DEP_1) | instskip(SKIP_2) | instid1(VALU_DEP_3)
	v_fmac_f32_e32 v5, 0x3f3504f3, v9
	v_fmamk_f32 v1, v16, 0x3f3504f3, v19
	v_fma_f32 v9, v23, 2.0, -v3
	v_fma_f32 v13, v13, 2.0, -v5
	s_delay_alu instid0(VALU_DEP_3) | instskip(SKIP_3) | instid1(VALU_DEP_4)
	v_fmac_f32_e32 v1, 0x3f3504f3, v15
	v_fma_f32 v15, v20, 2.0, -v10
	v_fma_f32 v20, v21, 2.0, -v23
	;; [unrolled: 1-line block ×4, first 2 shown]
	s_delay_alu instid0(VALU_DEP_3) | instskip(SKIP_1) | instid1(VALU_DEP_2)
	v_dual_sub_f32 v11, v20, v11 :: v_dual_fmac_f32 v2, 0xbf3504f3, v16
	v_fma_f32 v16, v22, 2.0, -v24
	v_fma_f32 v8, v14, 2.0, -v2
	s_delay_alu instid0(VALU_DEP_2) | instskip(SKIP_1) | instid1(VALU_DEP_2)
	v_sub_f32_e32 v12, v15, v16
	v_fma_f32 v14, v25, 2.0, -v6
	v_fma_f32 v16, v15, 2.0, -v12
	;; [unrolled: 1-line block ×3, first 2 shown]
	ds_store_2addr_b64 v17, v[7:8], v[11:12] offset0:21 offset1:28
	ds_store_2addr_b64 v17, v[5:6], v[3:4] offset0:35 offset1:42
	;; [unrolled: 1-line block ×3, first 2 shown]
	ds_store_b64 v18, v[15:16]
	ds_store_b64 v17, v[1:2] offset:392
.LBB0_18:
	s_wait_alu 0xfffe
	s_or_b32 exec_lo, exec_lo, s1
	s_mul_u64 s[0:1], s[10:11], s[22:23]
	s_and_not1_b32 vcc_lo, exec_lo, s26
	s_wait_alu 0xfffe
	s_add_nc_u64 s[8:9], s[0:1], s[20:21]
	s_mov_b32 s0, -1
	global_wb scope:SCOPE_SE
	s_wait_dscnt 0x0
	s_barrier_signal -1
	s_barrier_wait -1
	global_inv scope:SCOPE_SE
	s_cbranch_vccz .LBB0_21
; %bb.19:
	s_wait_alu 0xfffe
	s_and_not1_b32 vcc_lo, exec_lo, s0
	s_wait_alu 0xfffe
	s_cbranch_vccz .LBB0_25
.LBB0_20:
	s_nop 0
	s_sendmsg sendmsg(MSG_DEALLOC_VGPRS)
	s_endpgm
.LBB0_21:
	s_mov_b32 s1, exec_lo
	v_cmpx_gt_u32_e32 0x380, v0
	s_cbranch_execz .LBB0_24
; %bb.22:
	v_lshl_add_u32 v1, v0, 3, 0
	v_mov_b32_e32 v2, v0
	s_lshl_b64 s[10:11], s[8:9], 3
	s_mov_b32 s12, 0
	s_wait_alu 0xfffe
	s_add_nc_u64 s[10:11], s[2:3], s[10:11]
.LBB0_23:                               ; =>This Inner Loop Header: Depth=1
	v_lshrrev_b16 v3, 3, v2
	s_delay_alu instid0(VALU_DEP_1) | instskip(NEXT) | instid1(VALU_DEP_1)
	v_and_b32_e32 v3, 0xffff, v3
	v_mul_u32_u24_e32 v3, 0x2493, v3
	s_delay_alu instid0(VALU_DEP_1) | instskip(NEXT) | instid1(VALU_DEP_1)
	v_lshrrev_b32_e32 v9, 16, v3
	v_mul_lo_u16 v3, v9, 56
	v_mad_co_u64_u32 v[5:6], null, s6, v9, 0
	s_delay_alu instid0(VALU_DEP_2) | instskip(SKIP_1) | instid1(VALU_DEP_2)
	v_sub_nc_u16 v3, v2, v3
	v_add_nc_u32_e32 v2, 0x80, v2
	v_and_b32_e32 v7, 0xffff, v3
	s_delay_alu instid0(VALU_DEP_1) | instskip(NEXT) | instid1(VALU_DEP_1)
	v_mad_co_u64_u32 v[3:4], null, s4, v7, 0
	v_mad_co_u64_u32 v[7:8], null, s5, v7, v[4:5]
	s_delay_alu instid0(VALU_DEP_1)
	v_mad_co_u64_u32 v[8:9], null, s7, v9, v[6:7]
	v_mov_b32_e32 v4, v7
	ds_load_b64 v[9:10], v1
	v_add_nc_u32_e32 v1, 0x400, v1
	v_lshlrev_b64_e32 v[3:4], 3, v[3:4]
	v_mov_b32_e32 v6, v8
	s_wait_alu 0xfffe
	s_delay_alu instid0(VALU_DEP_2) | instskip(NEXT) | instid1(VALU_DEP_2)
	v_add_co_u32 v3, vcc_lo, s10, v3
	v_lshlrev_b64_e32 v[5:6], 3, v[5:6]
	s_wait_alu 0xfffd
	v_add_co_ci_u32_e32 v4, vcc_lo, s11, v4, vcc_lo
	v_cmp_lt_u32_e32 vcc_lo, 0x37f, v2
	s_delay_alu instid0(VALU_DEP_3) | instskip(SKIP_1) | instid1(VALU_DEP_3)
	v_add_co_u32 v3, s0, v3, v5
	s_wait_alu 0xf1ff
	v_add_co_ci_u32_e64 v4, s0, v4, v6, s0
	s_or_b32 s12, vcc_lo, s12
	s_wait_dscnt 0x0
	global_store_b64 v[3:4], v[9:10], off
	s_wait_alu 0xfffe
	s_and_not1_b32 exec_lo, exec_lo, s12
	s_cbranch_execnz .LBB0_23
.LBB0_24:
	s_wait_alu 0xfffe
	s_or_b32 exec_lo, exec_lo, s1
	s_cbranch_execnz .LBB0_20
.LBB0_25:
	v_lshrrev_b16 v1, 3, v0
	v_add_nc_u16 v7, v0, 0x80
	v_add_nc_u16 v11, v0, 0x100
	;; [unrolled: 1-line block ×3, first 2 shown]
	s_lshl_b64 s[0:1], s[8:9], 3
	v_and_b32_e32 v1, 0xffff, v1
	v_lshrrev_b16 v2, 3, v7
	v_lshrrev_b16 v3, 3, v11
	;; [unrolled: 1-line block ×3, first 2 shown]
	s_wait_alu 0xfffe
	s_add_nc_u64 s[0:1], s[2:3], s[0:1]
	v_mul_u32_u24_e32 v1, 0x2493, v1
	v_and_b32_e32 v2, 0xffff, v2
	v_lshl_add_u32 v26, v0, 3, 0
	v_and_b32_e32 v12, 0xffff, v5
	s_delay_alu instid0(VALU_DEP_4) | instskip(NEXT) | instid1(VALU_DEP_4)
	v_lshrrev_b32_e32 v15, 16, v1
	v_mul_u32_u24_e32 v1, 0x2493, v2
	v_and_b32_e32 v2, 0xffff, v3
	s_delay_alu instid0(VALU_DEP_4) | instskip(NEXT) | instid1(VALU_DEP_4)
	v_mul_u32_u24_e32 v20, 0x2493, v12
	v_mul_lo_u16 v3, v15, 56
	s_delay_alu instid0(VALU_DEP_4) | instskip(NEXT) | instid1(VALU_DEP_4)
	v_lshrrev_b32_e32 v16, 16, v1
	v_mul_u32_u24_e32 v6, 0x2493, v2
	s_delay_alu instid0(VALU_DEP_3) | instskip(NEXT) | instid1(VALU_DEP_3)
	v_sub_nc_u16 v8, v0, v3
	v_mul_lo_u16 v9, v16, 56
	s_delay_alu instid0(VALU_DEP_3) | instskip(SKIP_1) | instid1(VALU_DEP_4)
	v_lshrrev_b32_e32 v18, 16, v6
	v_mad_co_u64_u32 v[5:6], null, s6, v15, 0
	v_and_b32_e32 v13, 0xffff, v8
	s_delay_alu instid0(VALU_DEP_4) | instskip(SKIP_2) | instid1(VALU_DEP_4)
	v_sub_nc_u16 v14, v7, v9
	v_mad_co_u64_u32 v[9:10], null, s6, v16, 0
	v_mul_lo_u16 v17, v18, 56
	v_mad_co_u64_u32 v[7:8], null, s4, v13, 0
	s_delay_alu instid0(VALU_DEP_4) | instskip(SKIP_4) | instid1(VALU_DEP_3)
	v_and_b32_e32 v21, 0xffff, v14
	ds_load_2addr_stride64_b64 v[1:4], v26 offset1:2
	v_sub_nc_u16 v22, v11, v17
	v_mad_co_u64_u32 v[13:14], null, s5, v13, v[8:9]
	v_mad_co_u64_u32 v[14:15], null, s7, v15, v[6:7]
	v_and_b32_e32 v22, 0xffff, v22
	s_delay_alu instid0(VALU_DEP_3) | instskip(SKIP_1) | instid1(VALU_DEP_1)
	v_mov_b32_e32 v8, v13
	v_mad_co_u64_u32 v[11:12], null, s4, v21, 0
	v_mov_b32_e32 v6, v12
	s_delay_alu instid0(VALU_DEP_2) | instskip(SKIP_1) | instid1(VALU_DEP_3)
	v_mad_co_u64_u32 v[15:16], null, s7, v16, v[10:11]
	v_mad_co_u64_u32 v[16:17], null, s6, v18, 0
	;; [unrolled: 1-line block ×3, first 2 shown]
	v_mov_b32_e32 v6, v14
	v_lshlrev_b64_e32 v[7:8], 3, v[7:8]
	v_mov_b32_e32 v10, v15
	v_mad_co_u64_u32 v[13:14], null, s4, v22, 0
	s_delay_alu instid0(VALU_DEP_4) | instskip(SKIP_1) | instid1(VALU_DEP_4)
	v_lshlrev_b64_e32 v[5:6], 3, v[5:6]
	s_wait_alu 0xfffe
	v_add_co_u32 v15, vcc_lo, s0, v7
	s_wait_alu 0xfffd
	v_add_co_ci_u32_e32 v21, vcc_lo, s1, v8, vcc_lo
	v_lshlrev_b64_e32 v[7:8], 3, v[11:12]
	s_delay_alu instid0(VALU_DEP_3) | instskip(SKIP_3) | instid1(VALU_DEP_4)
	v_add_co_u32 v5, vcc_lo, v15, v5
	v_lshlrev_b64_e32 v[9:10], 3, v[9:10]
	s_wait_alu 0xfffd
	v_add_co_ci_u32_e32 v6, vcc_lo, v21, v6, vcc_lo
	v_add_co_u32 v11, vcc_lo, s0, v7
	s_wait_alu 0xfffd
	v_add_co_ci_u32_e32 v12, vcc_lo, s1, v8, vcc_lo
	v_mov_b32_e32 v7, v14
	s_delay_alu instid0(VALU_DEP_3) | instskip(SKIP_1) | instid1(VALU_DEP_3)
	v_add_co_u32 v8, vcc_lo, v11, v9
	s_wait_alu 0xfffd
	v_add_co_ci_u32_e32 v9, vcc_lo, v12, v10, vcc_lo
	v_lshrrev_b32_e32 v15, 16, v20
	s_delay_alu instid0(VALU_DEP_3)
	v_mad_co_u64_u32 v[11:12], null, s5, v22, v[7:8]
	v_mov_b32_e32 v10, v17
	s_wait_dscnt 0x0
	global_store_b64 v[5:6], v[1:2], off
	v_mul_lo_u16 v7, v15, 56
	global_store_b64 v[8:9], v[3:4], off
	v_add_nc_u16 v20, v0, 0x280
	v_add_nc_u16 v21, v0, 0x300
	v_mad_co_u64_u32 v[17:18], null, s7, v18, v[10:11]
	v_add_nc_u16 v18, v0, 0x200
	v_sub_nc_u16 v1, v19, v7
	v_mov_b32_e32 v14, v11
	v_mad_co_u64_u32 v[9:10], null, s6, v15, 0
	s_delay_alu instid0(VALU_DEP_4) | instskip(NEXT) | instid1(VALU_DEP_4)
	v_lshrrev_b16 v12, 3, v18
	v_and_b32_e32 v11, 0xffff, v1
	s_delay_alu instid0(VALU_DEP_4)
	v_lshlrev_b64_e32 v[5:6], 3, v[13:14]
	ds_load_2addr_stride64_b64 v[1:4], v26 offset0:4 offset1:6
	v_lshrrev_b16 v0, 3, v21
	v_and_b32_e32 v12, 0xffff, v12
	v_mad_co_u64_u32 v[7:8], null, s4, v11, 0
	v_add_co_u32 v14, vcc_lo, s0, v5
	s_delay_alu instid0(VALU_DEP_3)
	v_mul_u32_u24_e32 v12, 0x2493, v12
	s_wait_alu 0xfffd
	v_add_co_ci_u32_e32 v19, vcc_lo, s1, v6, vcc_lo
	v_lshlrev_b64_e32 v[5:6], 3, v[16:17]
	v_lshrrev_b16 v16, 3, v20
	v_lshrrev_b32_e32 v17, 16, v12
	v_mad_co_u64_u32 v[11:12], null, s5, v11, v[8:9]
	s_delay_alu instid0(VALU_DEP_2) | instskip(NEXT) | instid1(VALU_DEP_2)
	v_mul_lo_u16 v8, v17, 56
	v_mad_co_u64_u32 v[12:13], null, s7, v15, v[10:11]
	v_and_b32_e32 v10, 0xffff, v16
	v_add_co_u32 v13, vcc_lo, v14, v5
	s_delay_alu instid0(VALU_DEP_4) | instskip(SKIP_1) | instid1(VALU_DEP_4)
	v_sub_nc_u16 v5, v18, v8
	v_mov_b32_e32 v8, v11
	v_mul_u32_u24_e32 v11, 0x2493, v10
	v_mov_b32_e32 v10, v12
	s_wait_alu 0xfffd
	v_add_co_ci_u32_e32 v14, vcc_lo, v19, v6, vcc_lo
	v_and_b32_e32 v18, 0xffff, v5
	v_lshrrev_b32_e32 v27, 16, v11
	v_lshlrev_b64_e32 v[5:6], 3, v[7:8]
	v_and_b32_e32 v8, 0xffff, v0
	v_mad_co_u64_u32 v[15:16], null, s6, v17, 0
	v_mad_co_u64_u32 v[11:12], null, s4, v18, 0
	v_mul_lo_u16 v7, v27, 56
	v_add_co_u32 v19, vcc_lo, s0, v5
	s_wait_alu 0xfffd
	v_add_co_ci_u32_e32 v22, vcc_lo, s1, v6, vcc_lo
	v_lshlrev_b64_e32 v[5:6], 3, v[9:10]
	v_mov_b32_e32 v0, v12
	v_mul_u32_u24_e32 v12, 0x2493, v8
	v_sub_nc_u16 v10, v20, v7
	v_mov_b32_e32 v7, v16
	s_wait_dscnt 0x0
	v_mad_co_u64_u32 v[8:9], null, s5, v18, v[0:1]
	v_lshrrev_b32_e32 v28, 16, v12
	v_and_b32_e32 v23, 0xffff, v10
	v_add_co_u32 v19, vcc_lo, v19, v5
	s_wait_alu 0xfffd
	v_add_co_ci_u32_e32 v20, vcc_lo, v22, v6, vcc_lo
	v_mul_lo_u16 v0, v28, 56
	v_mad_co_u64_u32 v[9:10], null, s7, v17, v[7:8]
	v_mad_co_u64_u32 v[17:18], null, s4, v23, 0
	s_delay_alu instid0(VALU_DEP_3)
	v_sub_nc_u16 v10, v21, v0
	v_mov_b32_e32 v12, v8
	ds_load_2addr_stride64_b64 v[5:8], v26 offset0:8 offset1:10
	v_dual_mov_b32 v16, v9 :: v_dual_and_b32 v25, 0xffff, v10
	v_mov_b32_e32 v0, v18
	v_lshlrev_b64_e32 v[9:10], 3, v[11:12]
	s_delay_alu instid0(VALU_DEP_3) | instskip(NEXT) | instid1(VALU_DEP_3)
	v_mad_co_u64_u32 v[21:22], null, s4, v25, 0
	v_mad_co_u64_u32 v[11:12], null, s5, v23, v[0:1]
	;; [unrolled: 1-line block ×3, first 2 shown]
	s_delay_alu instid0(VALU_DEP_4)
	v_add_co_u32 v29, vcc_lo, s0, v9
	s_wait_alu 0xfffd
	v_add_co_ci_u32_e32 v30, vcc_lo, s1, v10, vcc_lo
	v_lshlrev_b64_e32 v[9:10], 3, v[15:16]
	v_mov_b32_e32 v18, v11
	v_dual_mov_b32 v0, v22 :: v_dual_mov_b32 v11, v24
	v_mad_co_u64_u32 v[15:16], null, s6, v28, 0
	s_delay_alu instid0(VALU_DEP_4) | instskip(NEXT) | instid1(VALU_DEP_3)
	v_add_co_u32 v9, vcc_lo, v29, v9
	v_mad_co_u64_u32 v[24:25], null, s5, v25, v[0:1]
	s_delay_alu instid0(VALU_DEP_4) | instskip(NEXT) | instid1(VALU_DEP_4)
	v_mad_co_u64_u32 v[11:12], null, s7, v27, v[11:12]
	v_mov_b32_e32 v0, v16
	v_lshlrev_b64_e32 v[16:17], 3, v[17:18]
	s_wait_alu 0xfffd
	v_add_co_ci_u32_e32 v10, vcc_lo, v30, v10, vcc_lo
	v_mov_b32_e32 v22, v24
	v_mov_b32_e32 v24, v11
	v_mad_co_u64_u32 v[11:12], null, s7, v28, v[0:1]
	v_add_co_u32 v0, vcc_lo, s0, v16
	s_wait_alu 0xfffd
	v_add_co_ci_u32_e32 v25, vcc_lo, s1, v17, vcc_lo
	ds_load_b64 v[17:18], v26 offset:6144
	v_lshlrev_b64_e32 v[21:22], 3, v[21:22]
	v_mov_b32_e32 v16, v11
	v_lshlrev_b64_e32 v[23:24], 3, v[23:24]
	s_delay_alu instid0(VALU_DEP_3) | instskip(NEXT) | instid1(VALU_DEP_3)
	v_add_co_u32 v21, vcc_lo, s0, v21
	v_lshlrev_b64_e32 v[11:12], 3, v[15:16]
	s_wait_alu 0xfffd
	v_add_co_ci_u32_e32 v22, vcc_lo, s1, v22, vcc_lo
	s_delay_alu instid0(VALU_DEP_4)
	v_add_co_u32 v15, vcc_lo, v0, v23
	s_wait_alu 0xfffd
	v_add_co_ci_u32_e32 v16, vcc_lo, v25, v24, vcc_lo
	v_add_co_u32 v11, vcc_lo, v21, v11
	s_wait_alu 0xfffd
	v_add_co_ci_u32_e32 v12, vcc_lo, v22, v12, vcc_lo
	s_clause 0x1
	global_store_b64 v[13:14], v[1:2], off
	global_store_b64 v[19:20], v[3:4], off
	s_wait_dscnt 0x1
	s_clause 0x1
	global_store_b64 v[9:10], v[5:6], off
	global_store_b64 v[15:16], v[7:8], off
	s_wait_dscnt 0x0
	global_store_b64 v[11:12], v[17:18], off
	s_nop 0
	s_sendmsg sendmsg(MSG_DEALLOC_VGPRS)
	s_endpgm
	.section	.rodata,"a",@progbits
	.p2align	6, 0x0
	.amdhsa_kernel fft_rtc_back_len56_factors_7_8_wgs_128_tpt_8_sp_op_CI_CI_sbcr
		.amdhsa_group_segment_fixed_size 0
		.amdhsa_private_segment_fixed_size 0
		.amdhsa_kernarg_size 104
		.amdhsa_user_sgpr_count 2
		.amdhsa_user_sgpr_dispatch_ptr 0
		.amdhsa_user_sgpr_queue_ptr 0
		.amdhsa_user_sgpr_kernarg_segment_ptr 1
		.amdhsa_user_sgpr_dispatch_id 0
		.amdhsa_user_sgpr_private_segment_size 0
		.amdhsa_wavefront_size32 1
		.amdhsa_uses_dynamic_stack 0
		.amdhsa_enable_private_segment 0
		.amdhsa_system_sgpr_workgroup_id_x 1
		.amdhsa_system_sgpr_workgroup_id_y 0
		.amdhsa_system_sgpr_workgroup_id_z 0
		.amdhsa_system_sgpr_workgroup_info 0
		.amdhsa_system_vgpr_workitem_id 0
		.amdhsa_next_free_vgpr 40
		.amdhsa_next_free_sgpr 59
		.amdhsa_reserve_vcc 1
		.amdhsa_float_round_mode_32 0
		.amdhsa_float_round_mode_16_64 0
		.amdhsa_float_denorm_mode_32 3
		.amdhsa_float_denorm_mode_16_64 3
		.amdhsa_fp16_overflow 0
		.amdhsa_workgroup_processor_mode 1
		.amdhsa_memory_ordered 1
		.amdhsa_forward_progress 0
		.amdhsa_round_robin_scheduling 0
		.amdhsa_exception_fp_ieee_invalid_op 0
		.amdhsa_exception_fp_denorm_src 0
		.amdhsa_exception_fp_ieee_div_zero 0
		.amdhsa_exception_fp_ieee_overflow 0
		.amdhsa_exception_fp_ieee_underflow 0
		.amdhsa_exception_fp_ieee_inexact 0
		.amdhsa_exception_int_div_zero 0
	.end_amdhsa_kernel
	.text
.Lfunc_end0:
	.size	fft_rtc_back_len56_factors_7_8_wgs_128_tpt_8_sp_op_CI_CI_sbcr, .Lfunc_end0-fft_rtc_back_len56_factors_7_8_wgs_128_tpt_8_sp_op_CI_CI_sbcr
                                        ; -- End function
	.section	.AMDGPU.csdata,"",@progbits
; Kernel info:
; codeLenInByte = 5104
; NumSgprs: 61
; NumVgprs: 40
; ScratchSize: 0
; MemoryBound: 0
; FloatMode: 240
; IeeeMode: 1
; LDSByteSize: 0 bytes/workgroup (compile time only)
; SGPRBlocks: 7
; VGPRBlocks: 4
; NumSGPRsForWavesPerEU: 61
; NumVGPRsForWavesPerEU: 40
; Occupancy: 16
; WaveLimiterHint : 1
; COMPUTE_PGM_RSRC2:SCRATCH_EN: 0
; COMPUTE_PGM_RSRC2:USER_SGPR: 2
; COMPUTE_PGM_RSRC2:TRAP_HANDLER: 0
; COMPUTE_PGM_RSRC2:TGID_X_EN: 1
; COMPUTE_PGM_RSRC2:TGID_Y_EN: 0
; COMPUTE_PGM_RSRC2:TGID_Z_EN: 0
; COMPUTE_PGM_RSRC2:TIDIG_COMP_CNT: 0
	.text
	.p2alignl 7, 3214868480
	.fill 96, 4, 3214868480
	.type	__hip_cuid_5491fc1533d65641,@object ; @__hip_cuid_5491fc1533d65641
	.section	.bss,"aw",@nobits
	.globl	__hip_cuid_5491fc1533d65641
__hip_cuid_5491fc1533d65641:
	.byte	0                               ; 0x0
	.size	__hip_cuid_5491fc1533d65641, 1

	.ident	"AMD clang version 19.0.0git (https://github.com/RadeonOpenCompute/llvm-project roc-6.4.0 25133 c7fe45cf4b819c5991fe208aaa96edf142730f1d)"
	.section	".note.GNU-stack","",@progbits
	.addrsig
	.addrsig_sym __hip_cuid_5491fc1533d65641
	.amdgpu_metadata
---
amdhsa.kernels:
  - .args:
      - .actual_access:  read_only
        .address_space:  global
        .offset:         0
        .size:           8
        .value_kind:     global_buffer
      - .offset:         8
        .size:           8
        .value_kind:     by_value
      - .actual_access:  read_only
        .address_space:  global
        .offset:         16
        .size:           8
        .value_kind:     global_buffer
      - .actual_access:  read_only
        .address_space:  global
        .offset:         24
        .size:           8
        .value_kind:     global_buffer
      - .actual_access:  read_only
        .address_space:  global
        .offset:         32
        .size:           8
        .value_kind:     global_buffer
      - .offset:         40
        .size:           8
        .value_kind:     by_value
      - .actual_access:  read_only
        .address_space:  global
        .offset:         48
        .size:           8
        .value_kind:     global_buffer
      - .actual_access:  read_only
        .address_space:  global
        .offset:         56
        .size:           8
        .value_kind:     global_buffer
      - .offset:         64
        .size:           4
        .value_kind:     by_value
      - .actual_access:  read_only
        .address_space:  global
        .offset:         72
        .size:           8
        .value_kind:     global_buffer
      - .actual_access:  read_only
        .address_space:  global
        .offset:         80
        .size:           8
        .value_kind:     global_buffer
      - .actual_access:  read_only
        .address_space:  global
        .offset:         88
        .size:           8
        .value_kind:     global_buffer
      - .actual_access:  write_only
        .address_space:  global
        .offset:         96
        .size:           8
        .value_kind:     global_buffer
    .group_segment_fixed_size: 0
    .kernarg_segment_align: 8
    .kernarg_segment_size: 104
    .language:       OpenCL C
    .language_version:
      - 2
      - 0
    .max_flat_workgroup_size: 128
    .name:           fft_rtc_back_len56_factors_7_8_wgs_128_tpt_8_sp_op_CI_CI_sbcr
    .private_segment_fixed_size: 0
    .sgpr_count:     61
    .sgpr_spill_count: 0
    .symbol:         fft_rtc_back_len56_factors_7_8_wgs_128_tpt_8_sp_op_CI_CI_sbcr.kd
    .uniform_work_group_size: 1
    .uses_dynamic_stack: false
    .vgpr_count:     40
    .vgpr_spill_count: 0
    .wavefront_size: 32
    .workgroup_processor_mode: 1
amdhsa.target:   amdgcn-amd-amdhsa--gfx1201
amdhsa.version:
  - 1
  - 2
...

	.end_amdgpu_metadata
